;; amdgpu-corpus repo=ROCm/rocFFT kind=compiled arch=gfx906 opt=O3
	.text
	.amdgcn_target "amdgcn-amd-amdhsa--gfx906"
	.amdhsa_code_object_version 6
	.protected	fft_rtc_back_len144_factors_6_6_4_wgs_120_tpt_12_halfLds_half_ip_CI_unitstride_sbrr_R2C_dirReg ; -- Begin function fft_rtc_back_len144_factors_6_6_4_wgs_120_tpt_12_halfLds_half_ip_CI_unitstride_sbrr_R2C_dirReg
	.globl	fft_rtc_back_len144_factors_6_6_4_wgs_120_tpt_12_halfLds_half_ip_CI_unitstride_sbrr_R2C_dirReg
	.p2align	8
	.type	fft_rtc_back_len144_factors_6_6_4_wgs_120_tpt_12_halfLds_half_ip_CI_unitstride_sbrr_R2C_dirReg,@function
fft_rtc_back_len144_factors_6_6_4_wgs_120_tpt_12_halfLds_half_ip_CI_unitstride_sbrr_R2C_dirReg: ; @fft_rtc_back_len144_factors_6_6_4_wgs_120_tpt_12_halfLds_half_ip_CI_unitstride_sbrr_R2C_dirReg
; %bb.0:
	s_load_dwordx2 s[2:3], s[4:5], 0x50
	s_load_dwordx4 s[8:11], s[4:5], 0x0
	s_load_dwordx2 s[12:13], s[4:5], 0x18
	v_mul_u32_u24_e32 v1, 0x1556, v0
	v_lshrrev_b32_e32 v1, 16, v1
	v_mad_u64_u32 v[1:2], s[0:1], s6, 10, v[1:2]
	v_mov_b32_e32 v5, 0
	s_waitcnt lgkmcnt(0)
	v_cmp_lt_u64_e64 s[0:1], s[10:11], 2
	v_mov_b32_e32 v2, v5
	v_mov_b32_e32 v3, 0
	;; [unrolled: 1-line block ×3, first 2 shown]
	s_and_b64 vcc, exec, s[0:1]
	v_mov_b32_e32 v4, 0
	v_mov_b32_e32 v9, v1
	s_cbranch_vccnz .LBB0_8
; %bb.1:
	s_load_dwordx2 s[0:1], s[4:5], 0x10
	s_add_u32 s6, s12, 8
	s_addc_u32 s7, s13, 0
	v_mov_b32_e32 v3, 0
	v_mov_b32_e32 v8, v2
	s_waitcnt lgkmcnt(0)
	s_add_u32 s16, s0, 8
	s_mov_b64 s[14:15], 1
	v_mov_b32_e32 v4, 0
	s_addc_u32 s17, s1, 0
	v_mov_b32_e32 v7, v1
.LBB0_2:                                ; =>This Inner Loop Header: Depth=1
	s_load_dwordx2 s[18:19], s[16:17], 0x0
                                        ; implicit-def: $vgpr9_vgpr10
	s_waitcnt lgkmcnt(0)
	v_or_b32_e32 v6, s19, v8
	v_cmp_ne_u64_e32 vcc, 0, v[5:6]
	s_and_saveexec_b64 s[0:1], vcc
	s_xor_b64 s[20:21], exec, s[0:1]
	s_cbranch_execz .LBB0_4
; %bb.3:                                ;   in Loop: Header=BB0_2 Depth=1
	v_cvt_f32_u32_e32 v2, s18
	v_cvt_f32_u32_e32 v6, s19
	s_sub_u32 s0, 0, s18
	s_subb_u32 s1, 0, s19
	v_mac_f32_e32 v2, 0x4f800000, v6
	v_rcp_f32_e32 v2, v2
	v_mul_f32_e32 v2, 0x5f7ffffc, v2
	v_mul_f32_e32 v6, 0x2f800000, v2
	v_trunc_f32_e32 v6, v6
	v_mac_f32_e32 v2, 0xcf800000, v6
	v_cvt_u32_f32_e32 v6, v6
	v_cvt_u32_f32_e32 v2, v2
	v_mul_lo_u32 v9, s0, v6
	v_mul_hi_u32 v10, s0, v2
	v_mul_lo_u32 v12, s1, v2
	v_mul_lo_u32 v11, s0, v2
	v_add_u32_e32 v9, v10, v9
	v_add_u32_e32 v9, v9, v12
	v_mul_hi_u32 v10, v2, v11
	v_mul_lo_u32 v12, v2, v9
	v_mul_hi_u32 v14, v2, v9
	v_mul_hi_u32 v13, v6, v11
	v_mul_lo_u32 v11, v6, v11
	v_mul_hi_u32 v15, v6, v9
	v_add_co_u32_e32 v10, vcc, v10, v12
	v_addc_co_u32_e32 v12, vcc, 0, v14, vcc
	v_mul_lo_u32 v9, v6, v9
	v_add_co_u32_e32 v10, vcc, v10, v11
	v_addc_co_u32_e32 v10, vcc, v12, v13, vcc
	v_addc_co_u32_e32 v11, vcc, 0, v15, vcc
	v_add_co_u32_e32 v9, vcc, v10, v9
	v_addc_co_u32_e32 v10, vcc, 0, v11, vcc
	v_add_co_u32_e32 v2, vcc, v2, v9
	v_addc_co_u32_e32 v6, vcc, v6, v10, vcc
	v_mul_lo_u32 v9, s0, v6
	v_mul_hi_u32 v10, s0, v2
	v_mul_lo_u32 v11, s1, v2
	v_mul_lo_u32 v12, s0, v2
	v_add_u32_e32 v9, v10, v9
	v_add_u32_e32 v9, v9, v11
	v_mul_lo_u32 v13, v2, v9
	v_mul_hi_u32 v14, v2, v12
	v_mul_hi_u32 v15, v2, v9
	;; [unrolled: 1-line block ×3, first 2 shown]
	v_mul_lo_u32 v12, v6, v12
	v_mul_hi_u32 v10, v6, v9
	v_add_co_u32_e32 v13, vcc, v14, v13
	v_addc_co_u32_e32 v14, vcc, 0, v15, vcc
	v_mul_lo_u32 v9, v6, v9
	v_add_co_u32_e32 v12, vcc, v13, v12
	v_addc_co_u32_e32 v11, vcc, v14, v11, vcc
	v_addc_co_u32_e32 v10, vcc, 0, v10, vcc
	v_add_co_u32_e32 v9, vcc, v11, v9
	v_addc_co_u32_e32 v10, vcc, 0, v10, vcc
	v_add_co_u32_e32 v2, vcc, v2, v9
	v_addc_co_u32_e32 v6, vcc, v6, v10, vcc
	v_mad_u64_u32 v[9:10], s[0:1], v7, v6, 0
	v_mul_hi_u32 v11, v7, v2
	v_add_co_u32_e32 v13, vcc, v11, v9
	v_addc_co_u32_e32 v14, vcc, 0, v10, vcc
	v_mad_u64_u32 v[9:10], s[0:1], v8, v2, 0
	v_mad_u64_u32 v[11:12], s[0:1], v8, v6, 0
	v_add_co_u32_e32 v2, vcc, v13, v9
	v_addc_co_u32_e32 v2, vcc, v14, v10, vcc
	v_addc_co_u32_e32 v6, vcc, 0, v12, vcc
	v_add_co_u32_e32 v2, vcc, v2, v11
	v_addc_co_u32_e32 v6, vcc, 0, v6, vcc
	v_mul_lo_u32 v11, s19, v2
	v_mul_lo_u32 v12, s18, v6
	v_mad_u64_u32 v[9:10], s[0:1], s18, v2, 0
	v_add3_u32 v10, v10, v12, v11
	v_sub_u32_e32 v11, v8, v10
	v_mov_b32_e32 v12, s19
	v_sub_co_u32_e32 v9, vcc, v7, v9
	v_subb_co_u32_e64 v11, s[0:1], v11, v12, vcc
	v_subrev_co_u32_e64 v12, s[0:1], s18, v9
	v_subbrev_co_u32_e64 v11, s[0:1], 0, v11, s[0:1]
	v_cmp_le_u32_e64 s[0:1], s19, v11
	v_cndmask_b32_e64 v13, 0, -1, s[0:1]
	v_cmp_le_u32_e64 s[0:1], s18, v12
	v_cndmask_b32_e64 v12, 0, -1, s[0:1]
	v_cmp_eq_u32_e64 s[0:1], s19, v11
	v_cndmask_b32_e64 v11, v13, v12, s[0:1]
	v_add_co_u32_e64 v12, s[0:1], 2, v2
	v_addc_co_u32_e64 v13, s[0:1], 0, v6, s[0:1]
	v_add_co_u32_e64 v14, s[0:1], 1, v2
	v_addc_co_u32_e64 v15, s[0:1], 0, v6, s[0:1]
	v_subb_co_u32_e32 v10, vcc, v8, v10, vcc
	v_cmp_ne_u32_e64 s[0:1], 0, v11
	v_cmp_le_u32_e32 vcc, s19, v10
	v_cndmask_b32_e64 v11, v15, v13, s[0:1]
	v_cndmask_b32_e64 v13, 0, -1, vcc
	v_cmp_le_u32_e32 vcc, s18, v9
	v_cndmask_b32_e64 v9, 0, -1, vcc
	v_cmp_eq_u32_e32 vcc, s19, v10
	v_cndmask_b32_e32 v9, v13, v9, vcc
	v_cmp_ne_u32_e32 vcc, 0, v9
	v_cndmask_b32_e32 v10, v6, v11, vcc
	v_cndmask_b32_e64 v6, v14, v12, s[0:1]
	v_cndmask_b32_e32 v9, v2, v6, vcc
.LBB0_4:                                ;   in Loop: Header=BB0_2 Depth=1
	s_andn2_saveexec_b64 s[0:1], s[20:21]
	s_cbranch_execz .LBB0_6
; %bb.5:                                ;   in Loop: Header=BB0_2 Depth=1
	v_cvt_f32_u32_e32 v2, s18
	s_sub_i32 s20, 0, s18
	v_rcp_iflag_f32_e32 v2, v2
	v_mul_f32_e32 v2, 0x4f7ffffe, v2
	v_cvt_u32_f32_e32 v2, v2
	v_mul_lo_u32 v6, s20, v2
	v_mul_hi_u32 v6, v2, v6
	v_add_u32_e32 v2, v2, v6
	v_mul_hi_u32 v2, v7, v2
	v_mul_lo_u32 v6, v2, s18
	v_add_u32_e32 v9, 1, v2
	v_sub_u32_e32 v6, v7, v6
	v_subrev_u32_e32 v10, s18, v6
	v_cmp_le_u32_e32 vcc, s18, v6
	v_cndmask_b32_e32 v6, v6, v10, vcc
	v_cndmask_b32_e32 v2, v2, v9, vcc
	v_add_u32_e32 v9, 1, v2
	v_cmp_le_u32_e32 vcc, s18, v6
	v_cndmask_b32_e32 v9, v2, v9, vcc
	v_mov_b32_e32 v10, v5
.LBB0_6:                                ;   in Loop: Header=BB0_2 Depth=1
	s_or_b64 exec, exec, s[0:1]
	v_mul_lo_u32 v2, v10, s18
	v_mul_lo_u32 v6, v9, s19
	v_mad_u64_u32 v[11:12], s[0:1], v9, s18, 0
	s_load_dwordx2 s[0:1], s[6:7], 0x0
	s_add_u32 s14, s14, 1
	v_add3_u32 v2, v12, v6, v2
	v_sub_co_u32_e32 v6, vcc, v7, v11
	v_subb_co_u32_e32 v2, vcc, v8, v2, vcc
	s_waitcnt lgkmcnt(0)
	v_mul_lo_u32 v2, s0, v2
	v_mul_lo_u32 v7, s1, v6
	v_mad_u64_u32 v[3:4], s[0:1], s0, v6, v[3:4]
	s_addc_u32 s15, s15, 0
	s_add_u32 s6, s6, 8
	v_add3_u32 v4, v7, v4, v2
	v_mov_b32_e32 v6, s10
	v_mov_b32_e32 v7, s11
	s_addc_u32 s7, s7, 0
	v_cmp_ge_u64_e32 vcc, s[14:15], v[6:7]
	s_add_u32 s16, s16, 8
	s_addc_u32 s17, s17, 0
	s_cbranch_vccnz .LBB0_8
; %bb.7:                                ;   in Loop: Header=BB0_2 Depth=1
	v_mov_b32_e32 v7, v9
	v_mov_b32_e32 v8, v10
	s_branch .LBB0_2
.LBB0_8:
	s_lshl_b64 s[0:1], s[10:11], 3
	s_add_u32 s0, s12, s0
	s_addc_u32 s1, s13, s1
	s_load_dwordx2 s[0:1], s[0:1], 0x0
	s_mov_b32 s6, 0xcccccccd
	v_mul_hi_u32 v5, v1, s6
	s_waitcnt lgkmcnt(0)
	v_mul_lo_u32 v6, s0, v10
	v_mul_lo_u32 v7, s1, v9
	v_mad_u64_u32 v[2:3], s[0:1], s0, v9, v[3:4]
	s_load_dwordx2 s[0:1], s[4:5], 0x20
	v_lshrrev_b32_e32 v4, 3, v5
	s_mov_b32 s4, 0x15555556
	v_mul_lo_u32 v4, v4, 10
	v_mul_hi_u32 v5, v0, s4
	s_waitcnt lgkmcnt(0)
	v_cmp_gt_u64_e32 vcc, s[0:1], v[9:10]
	v_cmp_le_u64_e64 s[0:1], s[0:1], v[9:10]
	v_sub_u32_e32 v1, v1, v4
	v_mul_u32_u24_e32 v4, 12, v5
	v_sub_u32_e32 v0, v0, v4
	v_add3_u32 v3, v7, v3, v6
	v_add_u32_e32 v4, 12, v0
	v_add_u32_e32 v6, 24, v0
	s_and_saveexec_b64 s[4:5], s[0:1]
	s_xor_b64 s[0:1], exec, s[4:5]
; %bb.9:
	v_add_u32_e32 v4, 12, v0
	v_add_u32_e32 v6, 24, v0
; %bb.10:
	s_or_saveexec_b64 s[4:5], s[0:1]
	v_mul_u32_u24_e32 v1, 0x91, v1
	v_lshlrev_b64 v[2:3], 2, v[2:3]
	v_lshlrev_b32_e32 v10, 2, v1
	v_lshlrev_b32_e32 v5, 2, v0
	s_xor_b64 exec, exec, s[4:5]
	s_cbranch_execz .LBB0_12
; %bb.11:
	v_mov_b32_e32 v1, 0
	v_mov_b32_e32 v7, s3
	v_add_co_u32_e64 v9, s[0:1], s2, v2
	v_addc_co_u32_e64 v11, s[0:1], v7, v3, s[0:1]
	v_lshlrev_b64 v[7:8], 2, v[0:1]
	v_add_co_u32_e64 v7, s[0:1], v9, v7
	v_addc_co_u32_e64 v8, s[0:1], v11, v8, s[0:1]
	global_load_dword v1, v[7:8], off
	global_load_dword v9, v[7:8], off offset:48
	global_load_dword v11, v[7:8], off offset:96
	;; [unrolled: 1-line block ×11, first 2 shown]
	v_add3_u32 v7, 0, v10, v5
	s_waitcnt vmcnt(10)
	ds_write2_b32 v7, v1, v9 offset1:12
	s_waitcnt vmcnt(8)
	ds_write2_b32 v7, v11, v12 offset0:24 offset1:36
	s_waitcnt vmcnt(6)
	ds_write2_b32 v7, v13, v14 offset0:48 offset1:60
	;; [unrolled: 2-line block ×5, first 2 shown]
.LBB0_12:
	s_or_b64 exec, exec, s[4:5]
	v_add_u32_e32 v12, 0, v10
	v_add3_u32 v1, 0, v5, v10
	s_waitcnt lgkmcnt(0)
	s_barrier
	v_add_u32_e32 v11, v12, v5
	ds_read2_b32 v[7:8], v1 offset0:36 offset1:48
	ds_read2_b32 v[13:14], v1 offset0:84 offset1:96
	;; [unrolled: 1-line block ×3, first 2 shown]
	ds_read_b32 v9, v11
	ds_read2_b32 v[17:18], v1 offset0:108 offset1:120
	ds_read2_b32 v[19:20], v1 offset0:12 offset1:24
	s_waitcnt lgkmcnt(4)
	v_pk_add_f16 v21, v8, v14
	v_pk_add_f16 v23, v8, v14 neg_lo:[0,1] neg_hi:[0,1]
	s_waitcnt lgkmcnt(2)
	v_pk_fma_f16 v21, v21, 0.5, v9 op_sel_hi:[1,0,1] neg_lo:[1,0,0] neg_hi:[1,0,0]
	s_movk_i32 s4, 0x3aee
	v_pk_fma_f16 v24, v23, s4, v21 op_sel:[0,0,1] op_sel_hi:[1,0,0] neg_lo:[1,0,0] neg_hi:[1,0,0]
	v_pk_fma_f16 v21, v23, s4, v21 op_sel:[0,0,1] op_sel_hi:[1,0,0]
	s_waitcnt lgkmcnt(1)
	v_pk_add_f16 v23, v16, v18
	s_waitcnt lgkmcnt(0)
	v_pk_fma_f16 v23, v23, 0.5, v20 op_sel_hi:[1,0,1] neg_lo:[1,0,0] neg_hi:[1,0,0]
	v_pk_add_f16 v25, v16, v18 neg_lo:[0,1] neg_hi:[0,1]
	v_pk_fma_f16 v26, v25, s4, v23 op_sel:[0,0,1] op_sel_hi:[1,0,0]
	v_pk_fma_f16 v23, v25, s4, v23 op_sel:[0,0,1] op_sel_hi:[1,0,0] neg_lo:[1,0,0] neg_hi:[1,0,0]
	v_lshrrev_b32_e32 v25, 16, v23
	v_mul_f16_e32 v27, 0xbaee, v26
	v_fma_f16 v25, v25, 0.5, v27
	v_pk_mul_f16 v27, v23, s4 op_sel_hi:[1,0]
	s_mov_b32 s0, 0xb8003800
	v_pk_fma_f16 v28, v26, s0, v27 op_sel:[0,0,1] op_sel_hi:[1,1,0]
	v_pk_fma_f16 v27, v26, s0, v27 op_sel:[0,0,1] op_sel_hi:[1,1,0] neg_lo:[0,0,1] neg_hi:[0,0,1]
	v_lshrrev_b32_e32 v26, 16, v26
	v_mul_f16_e32 v23, -0.5, v23
	s_mov_b32 s6, 0xffff
	v_fma_f16 v23, v26, s4, v23
	v_bfi_b32 v26, s6, v28, v27
	v_pk_add_f16 v26, v21, v26
	v_add_f16_e32 v29, v24, v23
	v_add_f16_sdwa v30, v24, v25 dst_sel:DWORD dst_unused:UNUSED_PAD src0_sel:WORD_1 src1_sel:DWORD
	v_alignbit_b32 v29, v29, v26, 16
	v_pack_b32_f16 v26, v30, v26
	v_mad_u32_u24 v30, v0, 20, v1
	v_pk_add_f16 v8, v9, v8
	v_pk_add_f16 v9, v20, v16
	ds_read_b32 v22, v1 offset:528
	s_waitcnt lgkmcnt(0)
	s_barrier
	ds_write2_b32 v30, v26, v29 offset0:1 offset1:2
	v_pack_b32_f16 v25, v25, v28
	v_alignbit_b32 v26, v21, v24, 16
	v_pk_add_f16 v8, v8, v14
	v_pk_add_f16 v9, v9, v18
	v_pk_add_f16 v25, v26, v25 neg_lo:[0,1] neg_hi:[0,1]
	v_pk_add_f16 v14, v8, v9 neg_lo:[0,1] neg_hi:[0,1]
	ds_write2_b32 v30, v14, v25 offset0:3 offset1:4
	v_mul_i32_i24_e32 v14, 6, v4
	v_pk_add_f16 v8, v8, v9
	v_alignbit_b32 v9, v24, v21, 16
	v_lshl_add_u32 v20, v14, 2, v12
	v_alignbit_b32 v14, v23, v27, 16
	v_pk_add_f16 v9, v9, v14 neg_lo:[0,1] neg_hi:[0,1]
	ds_write2_b32 v30, v8, v9 offset1:5
	v_pk_add_f16 v9, v15, v17
	v_pk_add_f16 v16, v19, v15
	v_pk_fma_f16 v9, v9, 0.5, v19 op_sel_hi:[1,0,1] neg_lo:[1,0,0] neg_hi:[1,0,0]
	v_pk_add_f16 v15, v15, v17 neg_lo:[0,1] neg_hi:[0,1]
	v_pk_add_f16 v16, v16, v17
	v_pk_fma_f16 v17, v15, s4, v9 op_sel:[0,0,1] op_sel_hi:[1,0,0] neg_lo:[1,0,0] neg_hi:[1,0,0]
	v_pk_fma_f16 v9, v15, s4, v9 op_sel:[0,0,1] op_sel_hi:[1,0,0]
	v_pk_add_f16 v15, v13, v22
	v_pk_add_f16 v14, v7, v13
	v_pk_fma_f16 v7, v15, 0.5, v7 op_sel_hi:[1,0,1] neg_lo:[1,0,0] neg_hi:[1,0,0]
	v_pk_add_f16 v13, v13, v22 neg_lo:[0,1] neg_hi:[0,1]
	v_pk_fma_f16 v15, v13, s4, v7 op_sel:[0,0,1] op_sel_hi:[1,0,0]
	v_pk_fma_f16 v7, v13, s4, v7 op_sel:[0,0,1] op_sel_hi:[1,0,0] neg_lo:[1,0,0] neg_hi:[1,0,0]
	v_pk_mul_f16 v19, v7, s4 op_sel_hi:[1,0]
	v_lshrrev_b32_e32 v13, 16, v7
	v_mul_f16_e32 v18, 0xbaee, v15
	v_pk_fma_f16 v21, v15, s0, v19 op_sel:[0,0,1] op_sel_hi:[1,1,0]
	v_pk_fma_f16 v19, v15, s0, v19 op_sel:[0,0,1] op_sel_hi:[1,1,0] neg_lo:[0,0,1] neg_hi:[0,0,1]
	v_lshrrev_b32_e32 v15, 16, v15
	v_mul_f16_e32 v7, -0.5, v7
	v_pk_add_f16 v14, v14, v22
	v_fma_f16 v13, v13, 0.5, v18
	v_bfi_b32 v22, s6, v21, v19
	v_fma_f16 v7, v15, s4, v7
	v_add_f16_sdwa v18, v17, v13 dst_sel:DWORD dst_unused:UNUSED_PAD src0_sel:WORD_1 src1_sel:DWORD
	v_pk_add_f16 v22, v9, v22
	v_add_f16_e32 v15, v17, v7
	v_alignbit_b32 v15, v15, v22, 16
	v_pack_b32_f16 v18, v18, v22
	ds_write2_b32 v20, v18, v15 offset0:1 offset1:2
	v_alignbit_b32 v15, v9, v17, 16
	v_alignbit_b32 v9, v17, v9, 16
	v_alignbit_b32 v7, v7, v19, 16
	v_pk_add_f16 v8, v16, v14
	v_pk_add_f16 v7, v9, v7 neg_lo:[0,1] neg_hi:[0,1]
	ds_write2_b32 v20, v8, v7 offset1:5
	v_add_u32_e32 v7, -6, v0
	v_cmp_gt_u32_e64 s[0:1], 6, v0
	v_pack_b32_f16 v13, v13, v21
	v_cndmask_b32_e64 v24, v7, v0, s[0:1]
	v_pk_add_f16 v14, v16, v14 neg_lo:[0,1] neg_hi:[0,1]
	v_pk_add_f16 v13, v15, v13 neg_lo:[0,1] neg_hi:[0,1]
	v_mul_i32_i24_e32 v7, 5, v24
	v_mov_b32_e32 v8, 0
	ds_write2_b32 v20, v14, v13 offset0:3 offset1:4
	v_lshlrev_b64 v[13:14], 2, v[7:8]
	v_mov_b32_e32 v25, s9
	v_add_co_u32_e64 v18, s[0:1], s8, v13
	v_addc_co_u32_e64 v19, s[0:1], v25, v14, s[0:1]
	s_waitcnt lgkmcnt(0)
	s_barrier
	global_load_dwordx4 v[14:17], v[18:19], off
	v_lshl_add_u32 v13, v6, 2, v12
	ds_read_b32 v7, v13
	s_movk_i32 s0, 0xffec
	v_mad_i32_i24 v9, v4, s0, v20
	ds_read_b32 v26, v9
	ds_read_b32 v27, v1 offset:528
	global_load_dword v28, v[18:19], off offset:16
	ds_read2_b32 v[18:19], v1 offset0:36 offset1:48
	s_waitcnt lgkmcnt(3)
	v_lshrrev_b32_e32 v20, 16, v7
	s_movk_i32 s0, 0xab
	s_mov_b32 s5, 0xbaee
	v_lshlrev_b32_e32 v24, 2, v24
	s_waitcnt lgkmcnt(0)
	v_lshrrev_b32_e32 v36, 16, v18
	s_waitcnt vmcnt(1)
	v_mul_f16_sdwa v21, v14, v20 dst_sel:DWORD dst_unused:UNUSED_PAD src0_sel:WORD_1 src1_sel:DWORD
	v_fma_f16 v29, v14, v7, v21
	v_mul_f16_sdwa v7, v14, v7 dst_sel:DWORD dst_unused:UNUSED_PAD src0_sel:WORD_1 src1_sel:DWORD
	v_fma_f16 v7, v14, v20, -v7
	ds_read2_b32 v[20:21], v1 offset0:60 offset1:72
	v_lshrrev_b32_e32 v14, 16, v19
	v_mul_f16_sdwa v22, v15, v19 dst_sel:DWORD dst_unused:UNUSED_PAD src0_sel:WORD_1 src1_sel:DWORD
	v_fma_f16 v30, v15, v14, -v22
	ds_read2_b32 v[22:23], v1 offset0:84 offset1:96
	v_mul_f16_sdwa v14, v15, v14 dst_sel:DWORD dst_unused:UNUSED_PAD src0_sel:WORD_1 src1_sel:DWORD
	v_fma_f16 v19, v15, v19, v14
	s_waitcnt lgkmcnt(1)
	v_lshrrev_b32_e32 v14, 16, v21
	v_mul_f16_sdwa v15, v16, v21 dst_sel:DWORD dst_unused:UNUSED_PAD src0_sel:WORD_1 src1_sel:DWORD
	v_fma_f16 v31, v16, v14, -v15
	v_mul_f16_sdwa v14, v16, v14 dst_sel:DWORD dst_unused:UNUSED_PAD src0_sel:WORD_1 src1_sel:DWORD
	v_fma_f16 v21, v16, v21, v14
	s_waitcnt lgkmcnt(0)
	v_lshrrev_b32_e32 v14, 16, v23
	v_mul_f16_sdwa v15, v17, v23 dst_sel:DWORD dst_unused:UNUSED_PAD src0_sel:WORD_1 src1_sel:DWORD
	v_fma_f16 v32, v17, v14, -v15
	v_mul_f16_sdwa v14, v17, v14 dst_sel:DWORD dst_unused:UNUSED_PAD src0_sel:WORD_1 src1_sel:DWORD
	v_fma_f16 v23, v17, v23, v14
	v_mul_lo_u16_sdwa v14, v4, s0 dst_sel:DWORD dst_unused:UNUSED_PAD src0_sel:BYTE_0 src1_sel:DWORD
	v_lshrrev_b16_e32 v33, 10, v14
	v_mul_lo_u16_e32 v14, 6, v33
	v_sub_u16_e32 v34, v4, v14
	v_mov_b32_e32 v14, 5
	v_mul_u32_u24_sdwa v14, v34, v14 dst_sel:DWORD dst_unused:UNUSED_PAD src0_sel:BYTE_0 src1_sel:DWORD
	v_lshlrev_b32_e32 v35, 2, v14
	global_load_dwordx4 v[14:17], v35, s[8:9]
	v_lshrrev_b32_e32 v38, 16, v22
	global_load_dword v35, v35, s[8:9] offset:16
	v_sub_f16_e32 v41, v30, v32
	v_cmp_lt_u32_e64 s[0:1], 5, v0
	s_waitcnt vmcnt(1)
	v_mul_f16_sdwa v37, v36, v14 dst_sel:DWORD dst_unused:UNUSED_PAD src0_sel:DWORD src1_sel:WORD_1
	v_fma_f16 v37, v18, v14, v37
	v_mul_f16_sdwa v18, v18, v14 dst_sel:DWORD dst_unused:UNUSED_PAD src0_sel:DWORD src1_sel:WORD_1
	v_fma_f16 v18, v36, v14, -v18
	v_lshrrev_b32_e32 v14, 16, v20
	v_mul_f16_sdwa v36, v14, v15 dst_sel:DWORD dst_unused:UNUSED_PAD src0_sel:DWORD src1_sel:WORD_1
	v_fma_f16 v36, v20, v15, v36
	v_mul_f16_sdwa v20, v20, v15 dst_sel:DWORD dst_unused:UNUSED_PAD src0_sel:DWORD src1_sel:WORD_1
	v_fma_f16 v20, v14, v15, -v20
	v_mul_f16_sdwa v14, v38, v16 dst_sel:DWORD dst_unused:UNUSED_PAD src0_sel:DWORD src1_sel:WORD_1
	v_fma_f16 v39, v22, v16, v14
	ds_read2_b32 v[14:15], v1 offset0:108 offset1:120
	v_mul_f16_sdwa v22, v22, v16 dst_sel:DWORD dst_unused:UNUSED_PAD src0_sel:DWORD src1_sel:WORD_1
	v_fma_f16 v16, v38, v16, -v22
	s_waitcnt lgkmcnt(0)
	v_lshrrev_b32_e32 v22, 16, v14
	v_mul_f16_sdwa v38, v14, v17 dst_sel:DWORD dst_unused:UNUSED_PAD src0_sel:DWORD src1_sel:WORD_1
	v_fma_f16 v38, v22, v17, -v38
	v_mul_f16_sdwa v22, v22, v17 dst_sel:DWORD dst_unused:UNUSED_PAD src0_sel:DWORD src1_sel:WORD_1
	v_fma_f16 v14, v14, v17, v22
	ds_read_b32 v22, v11
	v_lshrrev_b32_e32 v17, 16, v15
	v_mul_f16_sdwa v40, v17, v28 dst_sel:DWORD dst_unused:UNUSED_PAD src0_sel:DWORD src1_sel:WORD_1
	v_fma_f16 v40, v15, v28, v40
	v_mul_f16_sdwa v15, v15, v28 dst_sel:DWORD dst_unused:UNUSED_PAD src0_sel:DWORD src1_sel:WORD_1
	v_fma_f16 v15, v17, v28, -v15
	s_waitcnt lgkmcnt(0)
	v_lshrrev_b32_e32 v17, 16, v22
	v_add_f16_e32 v28, v17, v30
	v_add_f16_e32 v30, v30, v32
	v_fma_f16 v17, v30, -0.5, v17
	v_add_f16_e32 v30, v19, v23
	v_fma_f16 v30, v30, -0.5, v22
	v_add_f16_e32 v22, v22, v19
	v_add_f16_e32 v22, v22, v23
	v_sub_f16_e32 v19, v19, v23
	v_add_f16_e32 v23, v7, v31
	v_add_f16_e32 v28, v28, v32
	;; [unrolled: 1-line block ×3, first 2 shown]
	v_sub_f16_e32 v32, v31, v15
	v_add_f16_e32 v15, v31, v15
	v_fma_f16 v7, v15, -0.5, v7
	v_add_f16_e32 v15, v21, v40
	v_fma_f16 v15, v15, -0.5, v29
	v_add_f16_e32 v29, v29, v21
	v_sub_f16_e32 v21, v21, v40
	v_add_f16_e32 v29, v29, v40
	v_fma_f16 v40, v21, s4, v7
	v_fma_f16 v31, v32, s5, v15
	v_mul_f16_e32 v42, 0xbaee, v40
	v_mul_f16_e32 v40, 0.5, v40
	v_fma_f16 v42, v31, 0.5, v42
	v_fma_f16 v31, v31, s4, v40
	v_mov_b32_e32 v40, 0x90
	v_cndmask_b32_e64 v40, 0, v40, s[0:1]
	v_add_u32_e32 v40, 0, v40
	v_fma_f16 v7, v21, s5, v7
	v_add3_u32 v24, v40, v24, v10
	v_add_f16_e32 v40, v22, v29
	v_add_f16_e32 v43, v28, v23
	v_fma_f16 v44, v19, s4, v17
	v_fma_f16 v17, v19, s5, v17
	;; [unrolled: 1-line block ×3, first 2 shown]
	v_mul_f16_e32 v19, 0xbaee, v7
	v_mul_f16_e32 v7, -0.5, v7
	v_pack_b32_f16 v40, v40, v43
	v_fma_f16 v43, v41, s5, v30
	v_fma_f16 v30, v41, s4, v30
	v_fma_f16 v19, v15, -0.5, v19
	v_fma_f16 v7, v15, s4, v7
	v_sub_f16_e32 v15, v22, v29
	v_sub_f16_e32 v21, v28, v23
	v_add_f16_e32 v22, v30, v19
	v_add_f16_e32 v23, v17, v7
	v_pack_b32_f16 v22, v22, v23
	v_pack_b32_f16 v15, v15, v21
	s_waitcnt vmcnt(0)
	s_barrier
	ds_write2_b32 v24, v22, v15 offset0:12 offset1:18
	v_sub_f16_e32 v15, v43, v42
	v_sub_f16_e32 v19, v30, v19
	v_sub_f16_e32 v21, v44, v31
	v_sub_f16_e32 v7, v17, v7
	v_pack_b32_f16 v15, v15, v21
	v_pack_b32_f16 v7, v19, v7
	ds_write2_b32 v24, v15, v7 offset0:24 offset1:30
	v_lshrrev_b32_e32 v7, 16, v27
	v_mul_f16_sdwa v17, v27, v35 dst_sel:DWORD dst_unused:UNUSED_PAD src0_sel:DWORD src1_sel:WORD_1
	v_mul_f16_sdwa v15, v7, v35 dst_sel:DWORD dst_unused:UNUSED_PAD src0_sel:DWORD src1_sel:WORD_1
	v_fma_f16 v7, v7, v35, -v17
	v_mov_b32_e32 v17, 2
	s_movk_i32 s0, 0x90
	v_lshlrev_b32_sdwa v17, v17, v34 dst_sel:DWORD dst_unused:UNUSED_PAD src0_sel:DWORD src1_sel:BYTE_0
	v_mad_u32_u24 v19, v33, s0, 0
	v_add3_u32 v10, v19, v17, v10
	v_add_f16_e32 v17, v36, v14
	v_fma_f16 v17, v17, -0.5, v26
	v_sub_f16_e32 v19, v20, v38
	v_fma_f16 v21, v19, s5, v17
	v_fma_f16 v17, v19, s4, v17
	v_lshrrev_b32_e32 v19, 16, v26
	v_add_f16_e32 v22, v19, v20
	v_add_f16_e32 v20, v20, v38
	v_fma_f16 v19, v20, -0.5, v19
	v_add_f16_e32 v20, v26, v36
	v_add_f16_e32 v45, v43, v42
	;; [unrolled: 1-line block ×3, first 2 shown]
	v_fma_f16 v15, v27, v35, v15
	v_add_f16_e32 v20, v20, v14
	v_sub_f16_e32 v14, v36, v14
	v_pack_b32_f16 v45, v45, v46
	v_fma_f16 v23, v14, s4, v19
	v_fma_f16 v14, v14, s5, v19
	v_add_f16_e32 v19, v39, v15
	ds_write2_b32 v24, v40, v45 offset1:6
	v_fma_f16 v19, v19, -0.5, v37
	v_sub_f16_e32 v24, v16, v7
	v_fma_f16 v26, v24, s5, v19
	v_fma_f16 v19, v24, s4, v19
	v_add_f16_e32 v24, v18, v16
	v_add_f16_e32 v24, v24, v7
	;; [unrolled: 1-line block ×4, first 2 shown]
	v_fma_f16 v7, v7, -0.5, v18
	v_add_f16_e32 v16, v16, v15
	v_sub_f16_e32 v15, v39, v15
	v_fma_f16 v18, v15, s4, v7
	v_fma_f16 v7, v15, s5, v7
	v_mul_f16_e32 v15, 0xbaee, v18
	v_mul_f16_e32 v18, 0.5, v18
	v_fma_f16 v15, v26, 0.5, v15
	v_fma_f16 v18, v26, s4, v18
	v_mul_f16_e32 v26, 0xbaee, v7
	v_add_f16_e32 v22, v22, v38
	v_fma_f16 v26, v19, -0.5, v26
	v_mul_f16_e32 v7, -0.5, v7
	v_fma_f16 v7, v19, s4, v7
	v_add_f16_e32 v19, v20, v16
	v_sub_f16_e32 v16, v20, v16
	v_add_f16_e32 v20, v21, v15
	v_sub_f16_e32 v15, v21, v15
	;; [unrolled: 2-line block ×6, first 2 shown]
	v_pack_b32_f16 v14, v19, v26
	v_pack_b32_f16 v19, v20, v24
	ds_write2_b32 v10, v14, v19 offset1:6
	v_pack_b32_f16 v14, v21, v23
	v_pack_b32_f16 v16, v16, v22
	ds_write2_b32 v10, v14, v16 offset0:12 offset1:18
	v_pack_b32_f16 v14, v15, v18
	v_pack_b32_f16 v7, v17, v7
	ds_write2_b32 v10, v14, v7 offset0:24 offset1:30
	v_mul_u32_u24_e32 v7, 3, v0
	v_lshlrev_b32_e32 v7, 2, v7
	s_waitcnt lgkmcnt(0)
	s_barrier
	global_load_dwordx3 v[14:16], v7, s[8:9] offset:120
	v_mul_i32_i24_e32 v7, 3, v4
	v_lshlrev_b64 v[17:18], 2, v[7:8]
	v_mul_i32_i24_e32 v7, 3, v6
	v_add_co_u32_e64 v17, s[0:1], s8, v17
	v_addc_co_u32_e64 v18, s[0:1], v25, v18, s[0:1]
	global_load_dwordx3 v[17:19], v[17:18], off offset:120
	v_lshlrev_b64 v[20:21], 2, v[7:8]
	v_add_co_u32_e64 v20, s[0:1], s8, v20
	v_addc_co_u32_e64 v21, s[0:1], v25, v21, s[0:1]
	global_load_dwordx3 v[20:22], v[20:21], off offset:120
	ds_read2_b32 v[23:24], v1 offset0:36 offset1:48
	ds_read2_b32 v[25:26], v1 offset0:60 offset1:72
	;; [unrolled: 1-line block ×3, first 2 shown]
	ds_read_b32 v31, v1 offset:528
	v_cmp_ne_u32_e64 s[0:1], 0, v0
	s_waitcnt lgkmcnt(3)
	v_lshrrev_b32_e32 v7, 16, v23
	s_waitcnt lgkmcnt(0)
	v_lshrrev_b32_e32 v33, 16, v31
	s_waitcnt vmcnt(2)
	v_mul_f16_sdwa v10, v14, v7 dst_sel:DWORD dst_unused:UNUSED_PAD src0_sel:WORD_1 src1_sel:DWORD
	v_fma_f16 v10, v14, v23, v10
	v_mul_f16_sdwa v23, v14, v23 dst_sel:DWORD dst_unused:UNUSED_PAD src0_sel:WORD_1 src1_sel:DWORD
	v_fma_f16 v7, v14, v7, -v23
	v_lshrrev_b32_e32 v14, 16, v26
	v_mul_f16_sdwa v23, v15, v26 dst_sel:DWORD dst_unused:UNUSED_PAD src0_sel:WORD_1 src1_sel:DWORD
	v_fma_f16 v23, v15, v14, -v23
	v_mul_f16_sdwa v14, v15, v14 dst_sel:DWORD dst_unused:UNUSED_PAD src0_sel:WORD_1 src1_sel:DWORD
	v_fma_f16 v26, v15, v26, v14
	v_lshrrev_b32_e32 v14, 16, v27
	v_mul_f16_sdwa v15, v16, v27 dst_sel:DWORD dst_unused:UNUSED_PAD src0_sel:WORD_1 src1_sel:DWORD
	v_fma_f16 v29, v16, v14, -v15
	v_mul_f16_sdwa v14, v16, v14 dst_sel:DWORD dst_unused:UNUSED_PAD src0_sel:WORD_1 src1_sel:DWORD
	v_fma_f16 v16, v16, v27, v14
	v_lshrrev_b32_e32 v14, 16, v24
	s_waitcnt vmcnt(1)
	v_mul_f16_sdwa v15, v17, v14 dst_sel:DWORD dst_unused:UNUSED_PAD src0_sel:WORD_1 src1_sel:DWORD
	v_fma_f16 v27, v17, v24, v15
	v_mul_f16_sdwa v15, v17, v24 dst_sel:DWORD dst_unused:UNUSED_PAD src0_sel:WORD_1 src1_sel:DWORD
	v_fma_f16 v17, v17, v14, -v15
	ds_read2_b32 v[14:15], v1 offset0:84 offset1:96
	v_lshrrev_b32_e32 v24, 16, v28
	v_mul_f16_sdwa v30, v24, v19 dst_sel:DWORD dst_unused:UNUSED_PAD src0_sel:DWORD src1_sel:WORD_1
	v_fma_f16 v30, v28, v19, v30
	v_mul_f16_sdwa v28, v28, v19 dst_sel:DWORD dst_unused:UNUSED_PAD src0_sel:DWORD src1_sel:WORD_1
	v_fma_f16 v19, v24, v19, -v28
	s_waitcnt lgkmcnt(0)
	v_lshrrev_b32_e32 v24, 16, v14
	v_mul_f16_sdwa v28, v18, v14 dst_sel:DWORD dst_unused:UNUSED_PAD src0_sel:WORD_1 src1_sel:DWORD
	v_fma_f16 v28, v18, v24, -v28
	v_mul_f16_sdwa v24, v18, v24 dst_sel:DWORD dst_unused:UNUSED_PAD src0_sel:WORD_1 src1_sel:DWORD
	v_fma_f16 v14, v18, v14, v24
	v_lshrrev_b32_e32 v18, 16, v25
	s_waitcnt vmcnt(0)
	v_mul_f16_sdwa v24, v18, v20 dst_sel:DWORD dst_unused:UNUSED_PAD src0_sel:DWORD src1_sel:WORD_1
	v_fma_f16 v24, v25, v20, v24
	v_mul_f16_sdwa v25, v25, v20 dst_sel:DWORD dst_unused:UNUSED_PAD src0_sel:DWORD src1_sel:WORD_1
	v_fma_f16 v18, v18, v20, -v25
	v_lshrrev_b32_e32 v20, 16, v15
	v_mul_f16_sdwa v25, v20, v21 dst_sel:DWORD dst_unused:UNUSED_PAD src0_sel:DWORD src1_sel:WORD_1
	v_fma_f16 v25, v15, v21, v25
	v_mul_f16_sdwa v15, v15, v21 dst_sel:DWORD dst_unused:UNUSED_PAD src0_sel:DWORD src1_sel:WORD_1
	v_fma_f16 v15, v20, v21, -v15
	ds_read_b32 v20, v9
	ds_read_b32 v21, v13
	;; [unrolled: 1-line block ×3, first 2 shown]
	v_mul_f16_sdwa v34, v33, v22 dst_sel:DWORD dst_unused:UNUSED_PAD src0_sel:DWORD src1_sel:WORD_1
	v_fma_f16 v34, v31, v22, v34
	v_mul_f16_sdwa v31, v31, v22 dst_sel:DWORD dst_unused:UNUSED_PAD src0_sel:DWORD src1_sel:WORD_1
	v_fma_f16 v22, v33, v22, -v31
	s_waitcnt lgkmcnt(0)
	v_lshrrev_b32_e32 v31, 16, v32
	v_sub_f16_e32 v26, v32, v26
	v_sub_f16_e32 v23, v31, v23
	;; [unrolled: 1-line block ×4, first 2 shown]
	v_fma_f16 v32, v32, 2.0, -v26
	v_fma_f16 v31, v31, 2.0, -v23
	;; [unrolled: 1-line block ×4, first 2 shown]
	v_sub_f16_e32 v10, v32, v10
	v_sub_f16_e32 v7, v31, v7
	v_add_f16_e32 v29, v26, v29
	v_sub_f16_e32 v16, v23, v16
	v_fma_f16 v32, v32, 2.0, -v10
	v_fma_f16 v31, v31, 2.0, -v7
	;; [unrolled: 1-line block ×4, first 2 shown]
	v_pack_b32_f16 v31, v32, v31
	v_pack_b32_f16 v23, v26, v23
	;; [unrolled: 1-line block ×4, first 2 shown]
	s_barrier
	ds_write2_b32 v1, v31, v23 offset1:36
	ds_write2_b32 v1, v7, v10 offset0:72 offset1:108
	v_lshrrev_b32_e32 v1, 16, v20
	v_sub_f16_e32 v7, v20, v14
	v_sub_f16_e32 v10, v1, v28
	;; [unrolled: 1-line block ×4, first 2 shown]
	v_fma_f16 v14, v20, 2.0, -v7
	v_fma_f16 v1, v1, 2.0, -v10
	;; [unrolled: 1-line block ×4, first 2 shown]
	v_sub_f16_e32 v20, v14, v20
	v_sub_f16_e32 v17, v1, v17
	v_fma_f16 v14, v14, 2.0, -v20
	v_fma_f16 v1, v1, 2.0, -v17
	v_pack_b32_f16 v1, v14, v1
	v_lshrrev_b32_e32 v14, 16, v21
	v_add_f16_e32 v19, v7, v19
	v_sub_f16_e32 v16, v10, v16
	v_sub_f16_e32 v23, v21, v25
	;; [unrolled: 1-line block ×5, first 2 shown]
	v_fma_f16 v7, v7, 2.0, -v19
	v_fma_f16 v10, v10, 2.0, -v16
	;; [unrolled: 1-line block ×6, first 2 shown]
	v_sub_f16_e32 v24, v21, v24
	v_sub_f16_e32 v18, v14, v18
	v_add_f16_e32 v22, v23, v22
	v_sub_f16_e32 v25, v15, v25
	v_pack_b32_f16 v7, v7, v10
	v_fma_f16 v21, v21, 2.0, -v24
	v_fma_f16 v14, v14, 2.0, -v18
	;; [unrolled: 1-line block ×4, first 2 shown]
	ds_write2_b32 v9, v1, v7 offset1:36
	v_pack_b32_f16 v1, v20, v17
	v_pack_b32_f16 v7, v19, v16
	ds_write2_b32 v9, v1, v7 offset0:72 offset1:108
	v_pack_b32_f16 v1, v21, v14
	v_pack_b32_f16 v7, v23, v15
	ds_write2_b32 v13, v1, v7 offset1:36
	v_pack_b32_f16 v1, v24, v18
	v_pack_b32_f16 v7, v22, v25
	ds_write2_b32 v13, v1, v7 offset0:72 offset1:108
	s_waitcnt lgkmcnt(0)
	s_barrier
	ds_read_b32 v7, v11
	v_sub_u32_e32 v14, v12, v5
                                        ; implicit-def: $vgpr16
                                        ; implicit-def: $vgpr15
                                        ; implicit-def: $vgpr17
                                        ; implicit-def: $vgpr9_vgpr10
	s_and_saveexec_b64 s[4:5], s[0:1]
	s_xor_b64 s[4:5], exec, s[4:5]
	s_cbranch_execz .LBB0_14
; %bb.13:
	v_mov_b32_e32 v1, v8
	v_lshlrev_b64 v[8:9], 2, v[0:1]
	v_mov_b32_e32 v5, s9
	v_add_co_u32_e64 v8, s[0:1], s8, v8
	v_addc_co_u32_e64 v9, s[0:1], v5, v9, s[0:1]
	global_load_dword v5, v[8:9], off offset:552
	ds_read_b32 v8, v14 offset:576
	s_waitcnt lgkmcnt(0)
	v_pk_add_f16 v9, v7, v8 neg_lo:[0,1] neg_hi:[0,1]
	v_pk_add_f16 v7, v8, v7
	v_bfi_b32 v8, s6, v9, v7
	v_pk_mul_f16 v8, v8, 0.5 op_sel_hi:[1,0]
	v_bfi_b32 v7, s6, v7, v9
	v_pk_mul_f16 v9, v7, 0.5 op_sel_hi:[1,0]
	s_waitcnt vmcnt(0)
	v_pk_mul_f16 v10, v5, v8 op_sel:[1,0]
	v_pk_mul_f16 v5, v5, v8 op_sel_hi:[0,1]
	v_pk_fma_f16 v7, v7, 0.5, v10 op_sel_hi:[1,0,1]
	v_sub_f16_e32 v8, v9, v10
	v_sub_f16_sdwa v9, v10, v9 dst_sel:DWORD dst_unused:UNUSED_PAD src0_sel:WORD_1 src1_sel:WORD_1
	v_pk_add_f16 v10, v7, v5 op_sel:[0,1] op_sel_hi:[1,0]
	v_pk_add_f16 v7, v7, v5 op_sel:[0,1] op_sel_hi:[1,0] neg_lo:[0,1] neg_hi:[0,1]
	v_sub_f16_e32 v17, v9, v5
	v_bfi_b32 v16, s6, v10, v7
	v_mov_b32_e32 v10, v1
	v_sub_f16_sdwa v15, v8, v5 dst_sel:DWORD dst_unused:UNUSED_PAD src0_sel:DWORD src1_sel:WORD_1
	v_mov_b32_e32 v9, v0
                                        ; implicit-def: $vgpr7
.LBB0_14:
	s_andn2_saveexec_b64 s[0:1], s[4:5]
	s_cbranch_execz .LBB0_16
; %bb.15:
	ds_read_u16 v1, v12 offset:290
	s_waitcnt lgkmcnt(1)
	v_alignbit_b32 v5, s0, v7, 16
	v_pk_add_f16 v5, v5, v7
	v_mov_b32_e32 v9, 0
	v_sub_f16_sdwa v15, v7, v7 dst_sel:DWORD dst_unused:UNUSED_PAD src0_sel:DWORD src1_sel:WORD_1
	v_pack_b32_f16 v16, v5, 0
	s_waitcnt lgkmcnt(0)
	v_xor_b32_e32 v1, 0x8000, v1
	v_mov_b32_e32 v10, 0
	v_mov_b32_e32 v17, 0
	ds_write_b16 v12, v1 offset:290
.LBB0_16:
	s_or_b64 exec, exec, s[0:1]
	v_mov_b32_e32 v5, 0
	s_waitcnt lgkmcnt(0)
	v_lshlrev_b64 v[7:8], 2, v[4:5]
	v_mov_b32_e32 v1, s9
	v_add_co_u32_e64 v7, s[0:1], s8, v7
	v_addc_co_u32_e64 v8, s[0:1], v1, v8, s[0:1]
	global_load_dword v1, v[7:8], off offset:552
	v_mov_b32_e32 v7, v5
	v_lshlrev_b64 v[5:6], 2, v[6:7]
	v_mov_b32_e32 v8, s9
	v_add_co_u32_e64 v5, s[0:1], s8, v5
	v_addc_co_u32_e64 v6, s[0:1], v8, v6, s[0:1]
	global_load_dword v18, v[5:6], off offset:552
	s_add_u32 s0, s8, 0x228
	v_lshlrev_b64 v[5:6], 2, v[9:10]
	s_addc_u32 s1, s9, 0
	v_mov_b32_e32 v8, s1
	v_add_co_u32_e64 v7, s[0:1], s0, v5
	v_addc_co_u32_e64 v8, s[0:1], v8, v6, s[0:1]
	global_load_dword v9, v[7:8], off offset:144
	ds_write_b16 v14, v17 offset:578
	ds_write_b32 v11, v16
	ds_write_b16 v14, v15 offset:576
	v_lshl_add_u32 v4, v4, 2, v12
	ds_read_b32 v10, v4
	ds_read_b32 v12, v14 offset:528
	global_load_dword v15, v[7:8], off offset:192
	global_load_dword v16, v[7:8], off offset:240
	s_mov_b32 s0, 0xffff
	s_waitcnt lgkmcnt(0)
	v_pk_add_f16 v7, v10, v12 neg_lo:[0,1] neg_hi:[0,1]
	v_pk_add_f16 v8, v10, v12
	v_bfi_b32 v10, s0, v7, v8
	v_bfi_b32 v7, s0, v8, v7
	v_pk_mul_f16 v8, v10, 0.5 op_sel_hi:[1,0]
	v_pk_mul_f16 v7, v7, 0.5 op_sel_hi:[1,0]
	s_waitcnt vmcnt(4)
	v_pk_fma_f16 v10, v1, v8, v7 op_sel:[1,0,0]
	v_pk_mul_f16 v12, v1, v8 op_sel_hi:[0,1]
	v_pk_fma_f16 v17, v1, v8, v7 op_sel:[1,0,0] neg_lo:[1,0,0] neg_hi:[1,0,0]
	v_pk_fma_f16 v1, v1, v8, v7 op_sel:[1,0,0] neg_lo:[0,0,1] neg_hi:[0,0,1]
	v_pk_add_f16 v7, v10, v12 op_sel:[0,1] op_sel_hi:[1,0]
	v_pk_add_f16 v8, v10, v12 op_sel:[0,1] op_sel_hi:[1,0] neg_lo:[0,1] neg_hi:[0,1]
	v_pk_add_f16 v10, v17, v12 op_sel:[0,1] op_sel_hi:[1,0] neg_lo:[0,1] neg_hi:[0,1]
	;; [unrolled: 1-line block ×3, first 2 shown]
	v_bfi_b32 v7, s0, v7, v8
	v_bfi_b32 v1, s0, v10, v1
	ds_write_b32 v4, v7
	ds_write_b32 v14, v1 offset:528
	ds_read_b32 v1, v13
	ds_read_b32 v4, v14 offset:480
	s_waitcnt lgkmcnt(0)
	v_pk_add_f16 v7, v1, v4 neg_lo:[0,1] neg_hi:[0,1]
	v_pk_add_f16 v1, v1, v4
	v_bfi_b32 v4, s0, v7, v1
	v_bfi_b32 v1, s0, v1, v7
	v_pk_mul_f16 v4, v4, 0.5 op_sel_hi:[1,0]
	v_pk_mul_f16 v1, v1, 0.5 op_sel_hi:[1,0]
	s_waitcnt vmcnt(3)
	v_pk_fma_f16 v7, v18, v4, v1 op_sel:[1,0,0]
	v_pk_mul_f16 v8, v18, v4 op_sel_hi:[0,1]
	v_pk_fma_f16 v10, v18, v4, v1 op_sel:[1,0,0] neg_lo:[1,0,0] neg_hi:[1,0,0]
	v_pk_fma_f16 v1, v18, v4, v1 op_sel:[1,0,0] neg_lo:[0,0,1] neg_hi:[0,0,1]
	v_pk_add_f16 v4, v7, v8 op_sel:[0,1] op_sel_hi:[1,0]
	v_pk_add_f16 v7, v7, v8 op_sel:[0,1] op_sel_hi:[1,0] neg_lo:[0,1] neg_hi:[0,1]
	v_pk_add_f16 v10, v10, v8 op_sel:[0,1] op_sel_hi:[1,0] neg_lo:[0,1] neg_hi:[0,1]
	v_pk_add_f16 v1, v1, v8 op_sel:[0,1] op_sel_hi:[1,0] neg_lo:[0,1] neg_hi:[0,1]
	v_bfi_b32 v4, s0, v4, v7
	v_bfi_b32 v1, s0, v10, v1
	ds_write_b32 v13, v4
	ds_write_b32 v14, v1 offset:480
	ds_read_b32 v1, v11 offset:144
	ds_read_b32 v4, v14 offset:432
	s_waitcnt lgkmcnt(0)
	v_pk_add_f16 v7, v1, v4 neg_lo:[0,1] neg_hi:[0,1]
	v_pk_add_f16 v1, v1, v4
	v_bfi_b32 v4, s0, v7, v1
	v_bfi_b32 v1, s0, v1, v7
	v_pk_mul_f16 v4, v4, 0.5 op_sel_hi:[1,0]
	v_pk_mul_f16 v7, v1, 0.5 op_sel_hi:[1,0]
	s_waitcnt vmcnt(2)
	v_pk_mul_f16 v8, v9, v4 op_sel:[1,0]
	v_pk_mul_f16 v4, v9, v4 op_sel_hi:[0,1]
	v_pk_fma_f16 v1, v1, 0.5, v8 op_sel_hi:[1,0,1]
	v_sub_f16_e32 v9, v7, v8
	v_sub_f16_sdwa v7, v8, v7 dst_sel:DWORD dst_unused:UNUSED_PAD src0_sel:WORD_1 src1_sel:WORD_1
	v_pk_add_f16 v8, v1, v4 op_sel:[0,1] op_sel_hi:[1,0]
	v_pk_add_f16 v1, v1, v4 op_sel:[0,1] op_sel_hi:[1,0] neg_lo:[0,1] neg_hi:[0,1]
	v_sub_f16_sdwa v9, v9, v4 dst_sel:DWORD dst_unused:UNUSED_PAD src0_sel:DWORD src1_sel:WORD_1
	v_sub_f16_e32 v4, v7, v4
	v_bfi_b32 v1, s0, v8, v1
	ds_write_b16 v14, v4 offset:434
	ds_write_b32 v11, v1 offset:144
	ds_write_b16 v14, v9 offset:432
	ds_read_b32 v1, v11 offset:192
	ds_read_b32 v4, v14 offset:384
	s_waitcnt lgkmcnt(0)
	v_pk_add_f16 v7, v1, v4 neg_lo:[0,1] neg_hi:[0,1]
	v_pk_add_f16 v1, v1, v4
	v_bfi_b32 v4, s0, v7, v1
	v_bfi_b32 v1, s0, v1, v7
	v_pk_mul_f16 v4, v4, 0.5 op_sel_hi:[1,0]
	v_pk_mul_f16 v7, v1, 0.5 op_sel_hi:[1,0]
	s_waitcnt vmcnt(1)
	v_pk_mul_f16 v8, v15, v4 op_sel:[1,0]
	v_pk_mul_f16 v4, v15, v4 op_sel_hi:[0,1]
	v_pk_fma_f16 v1, v1, 0.5, v8 op_sel_hi:[1,0,1]
	v_sub_f16_e32 v9, v7, v8
	v_sub_f16_sdwa v7, v8, v7 dst_sel:DWORD dst_unused:UNUSED_PAD src0_sel:WORD_1 src1_sel:WORD_1
	v_pk_add_f16 v8, v1, v4 op_sel:[0,1] op_sel_hi:[1,0]
	v_pk_add_f16 v1, v1, v4 op_sel:[0,1] op_sel_hi:[1,0] neg_lo:[0,1] neg_hi:[0,1]
	v_sub_f16_sdwa v9, v9, v4 dst_sel:DWORD dst_unused:UNUSED_PAD src0_sel:DWORD src1_sel:WORD_1
	v_sub_f16_e32 v4, v7, v4
	v_bfi_b32 v1, s0, v8, v1
	ds_write_b16 v14, v4 offset:386
	ds_write_b32 v11, v1 offset:192
	ds_write_b16 v14, v9 offset:384
	ds_read_b32 v1, v11 offset:240
	ds_read_b32 v4, v14 offset:336
	s_waitcnt lgkmcnt(0)
	v_pk_add_f16 v7, v1, v4 neg_lo:[0,1] neg_hi:[0,1]
	v_pk_add_f16 v1, v1, v4
	v_bfi_b32 v4, s0, v7, v1
	v_bfi_b32 v1, s0, v1, v7
	v_pk_mul_f16 v4, v4, 0.5 op_sel_hi:[1,0]
	v_pk_mul_f16 v1, v1, 0.5 op_sel_hi:[1,0]
	s_waitcnt vmcnt(0)
	v_pk_fma_f16 v7, v16, v4, v1 op_sel:[1,0,0]
	v_pk_mul_f16 v8, v16, v4 op_sel_hi:[0,1]
	v_pk_fma_f16 v9, v16, v4, v1 op_sel:[1,0,0] neg_lo:[1,0,0] neg_hi:[1,0,0]
	v_pk_fma_f16 v1, v16, v4, v1 op_sel:[1,0,0] neg_lo:[0,0,1] neg_hi:[0,0,1]
	v_pk_add_f16 v4, v7, v8 op_sel:[0,1] op_sel_hi:[1,0]
	v_pk_add_f16 v7, v7, v8 op_sel:[0,1] op_sel_hi:[1,0] neg_lo:[0,1] neg_hi:[0,1]
	v_pk_add_f16 v9, v9, v8 op_sel:[0,1] op_sel_hi:[1,0] neg_lo:[0,1] neg_hi:[0,1]
	;; [unrolled: 1-line block ×3, first 2 shown]
	v_bfi_b32 v4, s0, v4, v7
	v_bfi_b32 v1, s0, v9, v1
	ds_write_b32 v11, v4 offset:240
	ds_write_b32 v14, v1 offset:336
	s_waitcnt lgkmcnt(0)
	s_barrier
	s_and_saveexec_b64 s[0:1], vcc
	s_cbranch_execz .LBB0_19
; %bb.17:
	v_mov_b32_e32 v4, s3
	v_add_co_u32_e32 v1, vcc, s2, v2
	v_addc_co_u32_e32 v2, vcc, v4, v3, vcc
	ds_read2_b32 v[3:4], v11 offset1:12
	ds_read2_b32 v[7:8], v11 offset0:24 offset1:36
	v_add_co_u32_e32 v5, vcc, v1, v5
	v_addc_co_u32_e32 v6, vcc, v2, v6, vcc
	s_waitcnt lgkmcnt(1)
	global_store_dword v[5:6], v3, off
	ds_read2_b32 v[9:10], v11 offset0:48 offset1:60
	global_store_dword v[5:6], v4, off offset:48
	s_waitcnt lgkmcnt(1)
	global_store_dword v[5:6], v7, off offset:96
	global_store_dword v[5:6], v8, off offset:144
	ds_read2_b32 v[3:4], v11 offset0:72 offset1:84
	ds_read2_b32 v[7:8], v11 offset0:96 offset1:108
	v_cmp_eq_u32_e32 vcc, 11, v0
	s_waitcnt lgkmcnt(2)
	global_store_dword v[5:6], v9, off offset:192
	global_store_dword v[5:6], v10, off offset:240
	ds_read2_b32 v[9:10], v11 offset0:120 offset1:132
	s_waitcnt lgkmcnt(2)
	global_store_dword v[5:6], v3, off offset:288
	global_store_dword v[5:6], v4, off offset:336
	s_waitcnt lgkmcnt(1)
	global_store_dword v[5:6], v7, off offset:384
	global_store_dword v[5:6], v8, off offset:432
	;; [unrolled: 3-line block ×3, first 2 shown]
	s_and_b64 exec, exec, vcc
	s_cbranch_execz .LBB0_19
; %bb.18:
	ds_read_b32 v0, v11 offset:532
	s_waitcnt lgkmcnt(0)
	global_store_dword v[1:2], v0, off offset:576
.LBB0_19:
	s_endpgm
	.section	.rodata,"a",@progbits
	.p2align	6, 0x0
	.amdhsa_kernel fft_rtc_back_len144_factors_6_6_4_wgs_120_tpt_12_halfLds_half_ip_CI_unitstride_sbrr_R2C_dirReg
		.amdhsa_group_segment_fixed_size 0
		.amdhsa_private_segment_fixed_size 0
		.amdhsa_kernarg_size 88
		.amdhsa_user_sgpr_count 6
		.amdhsa_user_sgpr_private_segment_buffer 1
		.amdhsa_user_sgpr_dispatch_ptr 0
		.amdhsa_user_sgpr_queue_ptr 0
		.amdhsa_user_sgpr_kernarg_segment_ptr 1
		.amdhsa_user_sgpr_dispatch_id 0
		.amdhsa_user_sgpr_flat_scratch_init 0
		.amdhsa_user_sgpr_private_segment_size 0
		.amdhsa_uses_dynamic_stack 0
		.amdhsa_system_sgpr_private_segment_wavefront_offset 0
		.amdhsa_system_sgpr_workgroup_id_x 1
		.amdhsa_system_sgpr_workgroup_id_y 0
		.amdhsa_system_sgpr_workgroup_id_z 0
		.amdhsa_system_sgpr_workgroup_info 0
		.amdhsa_system_vgpr_workitem_id 0
		.amdhsa_next_free_vgpr 47
		.amdhsa_next_free_sgpr 22
		.amdhsa_reserve_vcc 1
		.amdhsa_reserve_flat_scratch 0
		.amdhsa_float_round_mode_32 0
		.amdhsa_float_round_mode_16_64 0
		.amdhsa_float_denorm_mode_32 3
		.amdhsa_float_denorm_mode_16_64 3
		.amdhsa_dx10_clamp 1
		.amdhsa_ieee_mode 1
		.amdhsa_fp16_overflow 0
		.amdhsa_exception_fp_ieee_invalid_op 0
		.amdhsa_exception_fp_denorm_src 0
		.amdhsa_exception_fp_ieee_div_zero 0
		.amdhsa_exception_fp_ieee_overflow 0
		.amdhsa_exception_fp_ieee_underflow 0
		.amdhsa_exception_fp_ieee_inexact 0
		.amdhsa_exception_int_div_zero 0
	.end_amdhsa_kernel
	.text
.Lfunc_end0:
	.size	fft_rtc_back_len144_factors_6_6_4_wgs_120_tpt_12_halfLds_half_ip_CI_unitstride_sbrr_R2C_dirReg, .Lfunc_end0-fft_rtc_back_len144_factors_6_6_4_wgs_120_tpt_12_halfLds_half_ip_CI_unitstride_sbrr_R2C_dirReg
                                        ; -- End function
	.section	.AMDGPU.csdata,"",@progbits
; Kernel info:
; codeLenInByte = 6120
; NumSgprs: 26
; NumVgprs: 47
; ScratchSize: 0
; MemoryBound: 0
; FloatMode: 240
; IeeeMode: 1
; LDSByteSize: 0 bytes/workgroup (compile time only)
; SGPRBlocks: 3
; VGPRBlocks: 11
; NumSGPRsForWavesPerEU: 26
; NumVGPRsForWavesPerEU: 47
; Occupancy: 5
; WaveLimiterHint : 1
; COMPUTE_PGM_RSRC2:SCRATCH_EN: 0
; COMPUTE_PGM_RSRC2:USER_SGPR: 6
; COMPUTE_PGM_RSRC2:TRAP_HANDLER: 0
; COMPUTE_PGM_RSRC2:TGID_X_EN: 1
; COMPUTE_PGM_RSRC2:TGID_Y_EN: 0
; COMPUTE_PGM_RSRC2:TGID_Z_EN: 0
; COMPUTE_PGM_RSRC2:TIDIG_COMP_CNT: 0
	.type	__hip_cuid_f4379483becef4d6,@object ; @__hip_cuid_f4379483becef4d6
	.section	.bss,"aw",@nobits
	.globl	__hip_cuid_f4379483becef4d6
__hip_cuid_f4379483becef4d6:
	.byte	0                               ; 0x0
	.size	__hip_cuid_f4379483becef4d6, 1

	.ident	"AMD clang version 19.0.0git (https://github.com/RadeonOpenCompute/llvm-project roc-6.4.0 25133 c7fe45cf4b819c5991fe208aaa96edf142730f1d)"
	.section	".note.GNU-stack","",@progbits
	.addrsig
	.addrsig_sym __hip_cuid_f4379483becef4d6
	.amdgpu_metadata
---
amdhsa.kernels:
  - .args:
      - .actual_access:  read_only
        .address_space:  global
        .offset:         0
        .size:           8
        .value_kind:     global_buffer
      - .offset:         8
        .size:           8
        .value_kind:     by_value
      - .actual_access:  read_only
        .address_space:  global
        .offset:         16
        .size:           8
        .value_kind:     global_buffer
      - .actual_access:  read_only
        .address_space:  global
        .offset:         24
        .size:           8
        .value_kind:     global_buffer
      - .offset:         32
        .size:           8
        .value_kind:     by_value
      - .actual_access:  read_only
        .address_space:  global
        .offset:         40
        .size:           8
        .value_kind:     global_buffer
      - .actual_access:  read_only
        .address_space:  global
        .offset:         48
        .size:           8
        .value_kind:     global_buffer
      - .offset:         56
        .size:           4
        .value_kind:     by_value
      - .actual_access:  read_only
        .address_space:  global
        .offset:         64
        .size:           8
        .value_kind:     global_buffer
      - .actual_access:  read_only
        .address_space:  global
        .offset:         72
        .size:           8
        .value_kind:     global_buffer
      - .address_space:  global
        .offset:         80
        .size:           8
        .value_kind:     global_buffer
    .group_segment_fixed_size: 0
    .kernarg_segment_align: 8
    .kernarg_segment_size: 88
    .language:       OpenCL C
    .language_version:
      - 2
      - 0
    .max_flat_workgroup_size: 120
    .name:           fft_rtc_back_len144_factors_6_6_4_wgs_120_tpt_12_halfLds_half_ip_CI_unitstride_sbrr_R2C_dirReg
    .private_segment_fixed_size: 0
    .sgpr_count:     26
    .sgpr_spill_count: 0
    .symbol:         fft_rtc_back_len144_factors_6_6_4_wgs_120_tpt_12_halfLds_half_ip_CI_unitstride_sbrr_R2C_dirReg.kd
    .uniform_work_group_size: 1
    .uses_dynamic_stack: false
    .vgpr_count:     47
    .vgpr_spill_count: 0
    .wavefront_size: 64
amdhsa.target:   amdgcn-amd-amdhsa--gfx906
amdhsa.version:
  - 1
  - 2
...

	.end_amdgpu_metadata
